;; amdgpu-corpus repo=ROCm/bitsandbytes kind=harvested arch=n/a opt=n/a
	.text
	.amdgcn_target "amdgcn-amd-amdhsa--gfx1100"
	.amdhsa_code_object_version 6
	.protected	_Z21kOptimizer32bit2StateI6__halfLi6EEvPT_S2_PfS3_S3_ffffffffiffbi ; -- Begin function _Z21kOptimizer32bit2StateI6__halfLi6EEvPT_S2_PfS3_S3_ffffffffiffbi
	.globl	_Z21kOptimizer32bit2StateI6__halfLi6EEvPT_S2_PfS3_S3_ffffffffiffbi
	.p2align	8
	.type	_Z21kOptimizer32bit2StateI6__halfLi6EEvPT_S2_PfS3_S3_ffffffffiffbi,@function
_Z21kOptimizer32bit2StateI6__halfLi6EEvPT_S2_PfS3_S3_ffffffffiffbi: ; @_Z21kOptimizer32bit2StateI6__halfLi6EEvPT_S2_PfS3_S3_ffffffffiffbi
; %bb.0:
	s_clause 0x1
	s_load_b32 s28, s[0:1], 0x58
	s_load_b32 s2, s[0:1], 0x6c
	s_mov_b32 s11, 0
	s_waitcnt lgkmcnt(0)
	s_ashr_i32 s3, s28, 31
	s_and_b32 s4, s28, 0xfff
	s_lshr_b32 s3, s3, 20
	s_delay_alu instid0(SALU_CYCLE_1) | instskip(NEXT) | instid1(SALU_CYCLE_1)
	s_add_i32 s3, s28, s3
	s_and_b32 s3, s3, 0xfffff000
	s_cmp_lg_u32 s4, 0
	s_cselect_b32 s4, -1, 0
	s_delay_alu instid0(SALU_CYCLE_1) | instskip(NEXT) | instid1(VALU_DEP_1)
	v_cndmask_b32_e64 v1, 0, 1, s4
	v_readfirstlane_b32 s4, v1
	s_delay_alu instid0(VALU_DEP_1) | instskip(NEXT) | instid1(SALU_CYCLE_1)
	s_lshl_b32 s29, s4, 12
	s_add_i32 s29, s29, s3
	s_add_u32 s6, s0, 0x60
	s_addc_u32 s7, s1, 0
	s_and_b32 s2, s2, 0xffff
	s_delay_alu instid0(SALU_CYCLE_1) | instskip(NEXT) | instid1(SALU_CYCLE_1)
	s_mul_i32 s8, s15, s2
	s_lshl_b32 s10, s8, 2
	s_delay_alu instid0(SALU_CYCLE_1)
	s_cmp_ge_u32 s10, s29
	s_cbranch_scc1 .LBB72_75
; %bb.1:
	s_load_b256 s[12:19], s[0:1], 0x30
	s_mov_b32 s5, 0x3e76c4e1
	s_load_b256 s[20:27], s[0:1], 0x0
	s_load_b32 s6, s[6:7], 0x0
                                        ; implicit-def: $vgpr52
                                        ; implicit-def: $vgpr54
                                        ; implicit-def: $vgpr55
                                        ; implicit-def: $vgpr56
                                        ; implicit-def: $vgpr57
	v_lshlrev_b32_e32 v19, 2, v0
	s_delay_alu instid0(VALU_DEP_1) | instskip(NEXT) | instid1(VALU_DEP_1)
	v_and_b32_e32 v19, 0xf80, v19
	v_lshlrev_b32_e32 v43, 1, v19
	s_waitcnt lgkmcnt(0)
	v_cvt_f32_i32_e32 v1, s18
	v_cmp_neq_f32_e64 vcc_lo, s13, 1.0
	s_load_b32 s18, s[0:1], 0x50
	v_sub_f32_e64 v33, 1.0, s14
	v_sub_f32_e64 v34, 1.0, s13
	v_fma_f32 v51, -s17, s19, 1.0
	v_cndmask_b32_e32 v4, 1.0, v1, vcc_lo
	v_cmp_neq_f32_e64 vcc_lo, s12, 1.0
	s_delay_alu instid0(VALU_DEP_2) | instskip(NEXT) | instid1(VALU_DEP_1)
	v_cmp_eq_f32_e64 s2, 0, v4
	v_cndmask_b32_e64 v3, |s13|, 1.0, s2
	s_delay_alu instid0(VALU_DEP_1) | instskip(NEXT) | instid1(VALU_DEP_1)
	v_frexp_mant_f32_e32 v2, v3
	v_cmp_gt_f32_e64 s4, 0x3f2aaaab, v2
	s_delay_alu instid0(VALU_DEP_1) | instskip(NEXT) | instid1(VALU_DEP_1)
	v_cndmask_b32_e64 v5, 1.0, 2.0, s4
	v_mul_f32_e32 v5, v2, v5
	s_delay_alu instid0(VALU_DEP_1) | instskip(NEXT) | instid1(VALU_DEP_1)
	v_add_f32_e32 v6, 1.0, v5
	v_dual_cndmask_b32 v2, 1.0, v1 :: v_dual_add_f32 v11, -1.0, v6
	s_delay_alu instid0(VALU_DEP_1) | instskip(SKIP_1) | instid1(VALU_DEP_1)
	v_cmp_eq_f32_e32 vcc_lo, 0, v2
	v_cndmask_b32_e64 v1, |s12|, 1.0, vcc_lo
	v_frexp_mant_f32_e32 v10, v1
	s_delay_alu instid0(VALU_DEP_1) | instskip(NEXT) | instid1(VALU_DEP_1)
	v_cmp_gt_f32_e64 s3, 0x3f2aaaab, v10
	v_cndmask_b32_e64 v13, 1.0, 2.0, s3
	s_delay_alu instid0(VALU_DEP_1) | instskip(SKIP_2) | instid1(VALU_DEP_2)
	v_mul_f32_e32 v10, v10, v13
	v_dual_add_f32 v8, -1.0, v5 :: v_dual_sub_f32 v5, v5, v11
	v_rcp_f32_e32 v7, v6
	v_add_f32_e32 v15, -1.0, v10
	s_waitcnt_depctr 0xfff
	v_mul_f32_e32 v9, v8, v7
	s_delay_alu instid0(VALU_DEP_1) | instskip(NEXT) | instid1(VALU_DEP_1)
	v_dual_mul_f32 v41, 0.5, v4 :: v_dual_mul_f32 v12, v6, v9
	v_fma_f32 v6, v9, v6, -v12
	s_delay_alu instid0(VALU_DEP_1) | instskip(NEXT) | instid1(VALU_DEP_1)
	v_fmac_f32_e32 v6, v9, v5
	v_add_f32_e32 v11, v12, v6
	s_delay_alu instid0(VALU_DEP_1) | instskip(NEXT) | instid1(VALU_DEP_1)
	v_dual_add_f32 v5, 1.0, v10 :: v_dual_sub_f32 v14, v8, v11
	v_rcp_f32_e32 v13, v5
	v_sub_f32_e32 v12, v11, v12
	s_delay_alu instid0(VALU_DEP_2) | instskip(NEXT) | instid1(VALU_DEP_1)
	v_sub_f32_e32 v8, v8, v14
	v_dual_sub_f32 v8, v8, v11 :: v_dual_add_f32 v11, -1.0, v5
	s_delay_alu instid0(VALU_DEP_3) | instskip(NEXT) | instid1(VALU_DEP_1)
	v_sub_f32_e32 v6, v12, v6
	v_add_f32_e32 v6, v6, v8
	s_waitcnt_depctr 0xfff
	v_mul_f32_e32 v16, v15, v13
	v_sub_f32_e32 v8, v10, v11
	s_delay_alu instid0(VALU_DEP_2) | instskip(NEXT) | instid1(VALU_DEP_1)
	v_mul_f32_e32 v12, v5, v16
	v_fma_f32 v10, v16, v5, -v12
	s_delay_alu instid0(VALU_DEP_1) | instskip(NEXT) | instid1(VALU_DEP_1)
	v_dual_add_f32 v5, v14, v6 :: v_dual_fmac_f32 v10, v16, v8
	v_mul_f32_e32 v5, v7, v5
	s_delay_alu instid0(VALU_DEP_2) | instskip(NEXT) | instid1(VALU_DEP_2)
	v_add_f32_e32 v7, v12, v10
	v_add_f32_e32 v11, v9, v5
	s_delay_alu instid0(VALU_DEP_1) | instskip(NEXT) | instid1(VALU_DEP_3)
	v_mul_f32_e32 v14, v11, v11
	v_sub_f32_e32 v8, v15, v7
	v_sub_f32_e32 v6, v11, v9
	;; [unrolled: 1-line block ×3, first 2 shown]
	s_delay_alu instid0(VALU_DEP_1) | instskip(SKIP_1) | instid1(VALU_DEP_2)
	v_dual_sub_f32 v12, v15, v8 :: v_dual_sub_f32 v9, v9, v10
	v_fma_f32 v10, v11, v11, -v14
	v_sub_f32_e32 v7, v12, v7
	v_sub_f32_e32 v15, v5, v6
	v_cvt_f64_f32_e32 v[5:6], v3
	s_delay_alu instid0(VALU_DEP_3) | instskip(NEXT) | instid1(VALU_DEP_3)
	v_add_f32_e32 v7, v9, v7
	v_add_f32_e32 v12, v15, v15
	s_delay_alu instid0(VALU_DEP_1) | instskip(NEXT) | instid1(VALU_DEP_1)
	v_fmac_f32_e32 v10, v11, v12
	v_add_f32_e32 v9, v14, v10
	s_delay_alu instid0(VALU_DEP_4) | instskip(NEXT) | instid1(VALU_DEP_2)
	v_add_f32_e32 v7, v8, v7
	v_mul_f32_e32 v25, v11, v9
	s_delay_alu instid0(VALU_DEP_2) | instskip(NEXT) | instid1(VALU_DEP_2)
	v_mul_f32_e32 v7, v13, v7
	v_fma_f32 v26, v9, v11, -v25
	s_delay_alu instid0(VALU_DEP_1)
	v_fmac_f32_e32 v26, v9, v15
	v_ldexp_f32 v15, v15, 1
	v_frexp_exp_i32_f64_e32 v5, v[5:6]
	v_mbcnt_lo_u32_b32 v6, -1, 0
	v_add_f32_e32 v12, v16, v7
	v_fmaak_f32 v8, s5, v9, 0x3e91f4c4
	s_delay_alu instid0(VALU_DEP_3) | instskip(NEXT) | instid1(VALU_DEP_3)
	v_and_or_b32 v0, 0x3e0, v0, v6
	v_mul_f32_e32 v17, v12, v12
	s_delay_alu instid0(VALU_DEP_3) | instskip(SKIP_2) | instid1(VALU_DEP_4)
	v_fmaak_f32 v13, v9, v8, 0x3ecccdef
	v_sub_f32_e32 v8, v12, v16
	v_sub_f32_e32 v14, v9, v14
	v_fma_f32 v20, v12, v12, -v17
	s_delay_alu instid0(VALU_DEP_4) | instskip(NEXT) | instid1(VALU_DEP_4)
	v_mul_f32_e32 v16, v9, v13
	v_sub_f32_e32 v18, v7, v8
	v_cvt_f64_f32_e32 v[7:8], v1
	s_delay_alu instid0(VALU_DEP_2) | instskip(SKIP_2) | instid1(VALU_DEP_3)
	v_add_f32_e32 v21, v18, v18
	v_sub_f32_e32 v10, v10, v14
	v_fma_f32 v14, v9, v13, -v16
	v_fmac_f32_e32 v20, v12, v21
	s_delay_alu instid0(VALU_DEP_3) | instskip(NEXT) | instid1(VALU_DEP_3)
	v_fmac_f32_e32 v26, v10, v11
	v_dual_fmac_f32 v14, v10, v13 :: v_dual_lshlrev_b32 v21, 1, v6
	v_ldexp_f32 v11, v11, 1
	v_lshrrev_b32_e32 v10, 5, v19
	s_delay_alu instid0(VALU_DEP_3) | instskip(NEXT) | instid1(VALU_DEP_1)
	v_add_f32_e32 v13, v16, v14
	v_dual_sub_f32 v16, v13, v16 :: v_dual_add_f32 v23, 0x3f2aaaaa, v13
	v_subrev_co_ci_u32_e64 v5, s0, 0, v5, s4
	s_delay_alu instid0(VALU_DEP_2) | instskip(NEXT) | instid1(VALU_DEP_3)
	v_sub_f32_e32 v14, v14, v16
	v_add_f32_e32 v16, 0xbf2aaaaa, v23
	s_delay_alu instid0(VALU_DEP_3) | instskip(NEXT) | instid1(VALU_DEP_2)
	v_cvt_f32_i32_e32 v5, v5
	v_dual_add_f32 v14, 0x31739010, v14 :: v_dual_sub_f32 v13, v13, v16
	s_delay_alu instid0(VALU_DEP_1) | instskip(NEXT) | instid1(VALU_DEP_1)
	v_dual_add_f32 v22, v17, v20 :: v_dual_add_f32 v13, v14, v13
	v_fmaak_f32 v24, s5, v22, 0x3e91f4c4
	v_mul_f32_e32 v28, v12, v22
	v_frexp_exp_i32_f64_e32 v7, v[7:8]
	s_delay_alu instid0(VALU_DEP_4) | instskip(NEXT) | instid1(VALU_DEP_4)
	v_add_f32_e32 v16, v23, v13
	v_dual_fmaak_f32 v27, v22, v24, 0x3ecccdef :: v_dual_lshlrev_b32 v32, 2, v6
	v_or_b32_e32 v24, v6, v19
	v_dual_sub_f32 v6, v22, v17 :: v_dual_add_f32 v17, v25, v26
	s_delay_alu instid0(VALU_DEP_3) | instskip(NEXT) | instid1(VALU_DEP_3)
	v_dual_sub_f32 v8, v23, v16 :: v_dual_mul_f32 v9, v22, v27
	v_add_nc_u32_e32 v10, v10, v24
	s_delay_alu instid0(VALU_DEP_3) | instskip(NEXT) | instid1(VALU_DEP_3)
	v_mul_f32_e32 v23, v17, v16
	v_add_f32_e32 v8, v13, v8
	s_delay_alu instid0(VALU_DEP_4) | instskip(SKIP_1) | instid1(VALU_DEP_4)
	v_fma_f32 v14, v22, v27, -v9
	v_sub_f32_e32 v25, v17, v25
	v_fma_f32 v13, v17, v16, -v23
	s_delay_alu instid0(VALU_DEP_1) | instskip(NEXT) | instid1(VALU_DEP_3)
	v_dual_fmac_f32 v13, v17, v8 :: v_dual_sub_f32 v6, v20, v6
	v_sub_f32_e32 v25, v26, v25
	s_delay_alu instid0(VALU_DEP_2) | instskip(NEXT) | instid1(VALU_DEP_2)
	v_dual_mul_f32 v17, 0x3f317218, v5 :: v_dual_fmac_f32 v14, v6, v27
	v_fmac_f32_e32 v13, v25, v16
	s_delay_alu instid0(VALU_DEP_1) | instskip(NEXT) | instid1(VALU_DEP_1)
	v_dual_add_f32 v27, v9, v14 :: v_dual_add_f32 v16, v23, v13
	v_sub_f32_e32 v9, v27, v9
	v_add_f32_e32 v29, 0x3f2aaaaa, v27
	v_subrev_co_ci_u32_e64 v7, s0, 0, v7, s3
	s_delay_alu instid0(VALU_DEP_3) | instskip(SKIP_1) | instid1(VALU_DEP_4)
	v_sub_f32_e32 v8, v14, v9
	v_fma_f32 v14, v22, v12, -v28
	v_dual_add_f32 v9, 0xbf2aaaaa, v29 :: v_dual_lshlrev_b32 v20, 2, v0
	s_delay_alu instid0(VALU_DEP_4) | instskip(NEXT) | instid1(VALU_DEP_4)
	v_cvt_f32_i32_e32 v7, v7
	v_add_f32_e32 v8, 0x31739010, v8
	s_delay_alu instid0(VALU_DEP_3) | instskip(SKIP_3) | instid1(VALU_DEP_4)
	v_dual_fmac_f32 v14, v22, v18 :: v_dual_sub_f32 v9, v27, v9
	v_ldexp_f32 v18, v18, 1
	v_bfe_u32 v0, v0, 3, 27
	v_or_b32_e32 v27, 0x60, v24
	v_fmac_f32_e32 v14, v6, v12
	v_add_f32_e32 v6, v11, v16
	v_ldexp_f32 v12, v12, 1
	s_delay_alu instid0(VALU_DEP_2) | instskip(SKIP_1) | instid1(VALU_DEP_2)
	v_dual_sub_f32 v11, v6, v11 :: v_dual_add_f32 v8, v8, v9
	v_sub_f32_e32 v9, v16, v23
	v_sub_f32_e32 v11, v16, v11
	s_delay_alu instid0(VALU_DEP_2) | instskip(SKIP_1) | instid1(VALU_DEP_2)
	v_sub_f32_e32 v9, v13, v9
	v_fma_f32 v13, 0x3f317218, v5, -v17
	v_add_f32_e32 v9, v15, v9
	v_add_f32_e32 v23, v28, v14
	s_delay_alu instid0(VALU_DEP_3) | instskip(NEXT) | instid1(VALU_DEP_3)
	v_fmac_f32_e32 v13, 0xb102e308, v5
	v_add_f32_e32 v9, v9, v11
	s_delay_alu instid0(VALU_DEP_3) | instskip(SKIP_1) | instid1(VALU_DEP_4)
	v_sub_f32_e32 v5, v23, v28
	v_add_f32_e32 v22, v29, v8
	v_add_f32_e32 v11, v17, v13
	v_add_lshl_u32 v28, v0, v20, 2
	s_delay_alu instid0(VALU_DEP_4) | instskip(NEXT) | instid1(VALU_DEP_4)
	v_sub_f32_e32 v5, v14, v5
	v_sub_f32_e32 v25, v29, v22
	v_mul_f32_e32 v26, v23, v22
	v_sub_f32_e32 v17, v11, v17
	s_delay_alu instid0(VALU_DEP_3) | instskip(NEXT) | instid1(VALU_DEP_3)
	v_add_f32_e32 v8, v8, v25
	v_fma_f32 v15, v23, v22, -v26
	v_add_f32_e32 v14, v6, v9
	s_delay_alu instid0(VALU_DEP_4) | instskip(SKIP_1) | instid1(VALU_DEP_4)
	v_sub_f32_e32 v13, v13, v17
	v_or_b32_e32 v25, 32, v24
	v_fmac_f32_e32 v15, v23, v8
	s_delay_alu instid0(VALU_DEP_4) | instskip(SKIP_2) | instid1(VALU_DEP_4)
	v_add_f32_e32 v16, v11, v14
	v_lshlrev_b32_e32 v8, 2, v19
	v_sub_f32_e32 v6, v14, v6
	v_fmac_f32_e32 v15, v5, v22
	v_mul_f32_e32 v5, 0x3f317218, v7
	s_delay_alu instid0(VALU_DEP_3) | instskip(NEXT) | instid1(VALU_DEP_3)
	v_dual_sub_f32 v19, v16, v11 :: v_dual_sub_f32 v6, v9, v6
	v_add_f32_e32 v22, v26, v15
	s_delay_alu instid0(VALU_DEP_2) | instskip(SKIP_1) | instid1(VALU_DEP_3)
	v_sub_f32_e32 v17, v16, v19
	v_sub_f32_e32 v9, v14, v19
	;; [unrolled: 1-line block ×3, first 2 shown]
	s_delay_alu instid0(VALU_DEP_1) | instskip(NEXT) | instid1(VALU_DEP_4)
	v_sub_f32_e32 v14, v15, v26
	v_sub_f32_e32 v11, v11, v17
	v_add_f32_e32 v17, v13, v6
	v_add_f32_e32 v23, v12, v22
	v_fma_f32 v15, 0x3f317218, v7, -v5
	v_or_b32_e32 v26, 64, v24
	s_delay_alu instid0(VALU_DEP_3) | instskip(NEXT) | instid1(VALU_DEP_3)
	v_dual_add_f32 v9, v9, v11 :: v_dual_sub_f32 v12, v23, v12
	v_fmac_f32_e32 v15, 0xb102e308, v7
	s_delay_alu instid0(VALU_DEP_2) | instskip(SKIP_1) | instid1(VALU_DEP_1)
	v_sub_f32_e32 v11, v22, v12
	v_add_f32_e32 v12, v18, v14
	v_add_f32_e32 v7, v12, v11
	;; [unrolled: 1-line block ×3, first 2 shown]
	s_delay_alu instid0(VALU_DEP_1) | instskip(SKIP_1) | instid1(VALU_DEP_1)
	v_add_f32_e32 v12, v16, v9
	v_sub_f32_e32 v14, v17, v13
	v_dual_add_f32 v18, v23, v7 :: v_dual_sub_f32 v11, v17, v14
	v_sub_f32_e32 v6, v6, v14
	s_delay_alu instid0(VALU_DEP_2) | instskip(SKIP_1) | instid1(VALU_DEP_2)
	v_dual_sub_f32 v11, v13, v11 :: v_dual_and_b32 v14, 0x7e, v0
	v_sub_f32_e32 v13, v12, v16
	v_add_lshl_u32 v30, v14, v20, 1
	s_delay_alu instid0(VALU_DEP_2) | instskip(NEXT) | instid1(VALU_DEP_1)
	v_dual_add_f32 v6, v6, v11 :: v_dual_sub_f32 v9, v9, v13
	v_dual_add_f32 v17, v5, v15 :: v_dual_add_f32 v6, v6, v9
	s_delay_alu instid0(VALU_DEP_1) | instskip(SKIP_2) | instid1(VALU_DEP_2)
	v_add_f32_e32 v16, v17, v18
	v_dual_sub_f32 v0, v17, v5 :: v_dual_sub_f32 v5, v18, v23
	v_add_co_u32 v9, s0, s20, v21
	v_dual_sub_f32 v11, v16, v17 :: v_dual_sub_f32 v0, v15, v0
	v_add_f32_e32 v22, v12, v6
	v_add_co_ci_u32_e64 v13, null, s21, 0, s0
	s_delay_alu instid0(VALU_DEP_2) | instskip(SKIP_2) | instid1(VALU_DEP_3)
	v_dual_sub_f32 v19, v16, v11 :: v_dual_sub_f32 v12, v22, v12
	v_sub_f32_e32 v5, v7, v5
	v_sub_f32_e32 v7, v18, v11
	;; [unrolled: 1-line block ×3, first 2 shown]
	s_delay_alu instid0(VALU_DEP_4) | instskip(NEXT) | instid1(VALU_DEP_4)
	v_dual_mul_f32 v15, v4, v22 :: v_dual_sub_f32 v6, v6, v12
	v_add_f32_e32 v17, v0, v5
	v_lshrrev_b32_e32 v12, 5, v25
	v_lshrrev_b32_e32 v19, 5, v26
	s_delay_alu instid0(VALU_DEP_3) | instskip(NEXT) | instid1(VALU_DEP_1)
	v_sub_f32_e32 v18, v17, v0
	v_sub_f32_e32 v5, v5, v18
	v_add_f32_e32 v7, v7, v11
	v_fma_f32 v11, v4, v22, -v15
	s_delay_alu instid0(VALU_DEP_2) | instskip(SKIP_1) | instid1(VALU_DEP_3)
	v_add_f32_e32 v7, v17, v7
	v_lshlrev_b32_e32 v29, 1, v10
	v_fmac_f32_e32 v11, v4, v6
	v_lshrrev_b32_e32 v6, 5, v27
	s_delay_alu instid0(VALU_DEP_4) | instskip(NEXT) | instid1(VALU_DEP_1)
	v_add_f32_e32 v22, v16, v7
	v_sub_f32_e32 v16, v22, v16
	s_delay_alu instid0(VALU_DEP_4) | instskip(SKIP_1) | instid1(VALU_DEP_2)
	v_dual_add_f32 v14, v15, v11 :: v_dual_sub_f32 v17, v17, v18
	v_cmp_class_f32_e64 s0, v15, 0x204
	v_sub_f32_e32 v0, v0, v17
	s_delay_alu instid0(VALU_DEP_2) | instskip(SKIP_1) | instid1(VALU_DEP_1)
	v_cndmask_b32_e64 v17, v14, v15, s0
	v_add_co_u32 v18, s0, s24, v32
	v_add_co_ci_u32_e64 v20, null, s25, 0, s0
	s_delay_alu instid0(VALU_DEP_4) | instskip(SKIP_3) | instid1(VALU_DEP_3)
	v_add_f32_e32 v0, v5, v0
	v_sub_f32_e32 v5, v7, v16
	v_cmp_eq_f32_e64 s0, 0x42b17218, v17
	v_sub_f32_e32 v14, v14, v15
	v_add_f32_e32 v0, v0, v5
	s_delay_alu instid0(VALU_DEP_3) | instskip(NEXT) | instid1(VALU_DEP_2)
	v_cndmask_b32_e64 v7, 0, 0x37000000, s0
	v_add_f32_e32 v35, v22, v0
	s_delay_alu instid0(VALU_DEP_1) | instskip(NEXT) | instid1(VALU_DEP_1)
	v_dual_sub_f32 v5, v17, v7 :: v_dual_sub_f32 v22, v35, v22
	v_dual_mul_f32 v36, 0x3fb8aa3b, v5 :: v_dual_mul_f32 v37, v2, v35
	v_sub_f32_e32 v11, v11, v14
	s_delay_alu instid0(VALU_DEP_3) | instskip(NEXT) | instid1(VALU_DEP_3)
	v_sub_f32_e32 v0, v0, v22
	v_fma_f32 v38, 0x3fb8aa3b, v5, -v36
	v_rndne_f32_e32 v39, v36
	v_fma_f32 v22, v2, v35, -v37
	v_lshlrev_b32_e32 v31, 2, v10
	v_add_co_u32 v35, s1, v9, v43
	v_fmac_f32_e32 v38, 0x32a5705f, v5
	s_delay_alu instid0(VALU_DEP_4) | instskip(SKIP_4) | instid1(VALU_DEP_4)
	v_fmac_f32_e32 v22, v2, v0
	v_sub_f32_e32 v40, v36, v39
	v_add_co_ci_u32_e64 v36, s1, 0, v13, s1
	v_and_b32_e32 v0, 0x7c, v12
	v_cmp_class_f32_e64 s1, v37, 0x204
	v_add_f32_e32 v9, v40, v38
	v_add_f32_e32 v38, v37, v22
	v_cvt_i32_f32_e32 v15, v39
	v_trunc_f32_e32 v40, v4
	v_add_co_u32 v10, s0, s26, v32
	s_delay_alu instid0(VALU_DEP_4) | instskip(SKIP_1) | instid1(VALU_DEP_3)
	v_cndmask_b32_e64 v39, v38, v37, s1
	v_exp_f32_e32 v9, v9
	v_cmp_eq_f32_e64 s1, v40, v4
	v_add_co_ci_u32_e64 v16, null, s27, 0, s0
	s_delay_alu instid0(VALU_DEP_3) | instskip(SKIP_1) | instid1(VALU_DEP_1)
	v_cmp_eq_f32_e64 s3, 0x42b17218, v39
	v_add_co_u32 v21, s0, s22, v21
	v_add_co_ci_u32_e64 v23, null, s23, 0, s0
	s_delay_alu instid0(VALU_DEP_3) | instskip(SKIP_1) | instid1(TRANS32_DEP_1)
	v_cndmask_b32_e64 v14, 0, 0x37000000, s3
	v_cmp_neq_f32_e64 s3, 0x7f800000, |v17|
	v_ldexp_f32 v9, v9, v15
	v_trunc_f32_e32 v15, v41
	v_add_lshl_u32 v45, v0, v25, 1
	v_sub_f32_e32 v17, v39, v14
	v_cndmask_b32_e64 v11, 0, v11, s3
	v_cmp_ngt_f32_e64 s3, 0xc2ce8ed0, v5
	v_sub_f32_e64 v32, 1.0, s12
	v_cmp_gt_f32_e64 s0, s17, 0
	s_lshl_b32 s17, s6, 12
	v_add_f32_e32 v7, v7, v11
	v_cndmask_b32_e64 v9, 0, v9, s3
	v_cmp_nlt_f32_e64 s3, 0x42b17218, v5
	v_mul_f32_e32 v11, 0x3fb8aa3b, v17
	s_delay_alu instid0(VALU_DEP_2)
	v_cndmask_b32_e64 v5, 0x7f800000, v9, s3
	v_cmp_neq_f32_e64 s3, v15, v41
	v_cndmask_b32_e64 v9, s13, 1.0, s2
	v_cmp_gt_f32_e64 s2, 0, v4
	v_fma_f32 v15, 0x3fb8aa3b, v17, -v11
	v_fma_f32 v4, v5, v7, v5
	v_cmp_class_f32_e64 s4, v5, 0x204
	s_and_b32 s3, s1, s3
	v_rndne_f32_e32 v40, v11
	v_cndmask_b32_e64 v7, 1.0, v9, s3
	v_fmac_f32_e32 v15, 0x32a5705f, v17
	v_cndmask_b32_e64 v4, v4, v5, s4
	v_cmp_eq_f32_e64 s4, 0, v9
	v_sub_f32_e32 v11, v11, v40
	v_cndmask_b32_e64 v41, 0, v9, s3
	v_trunc_f32_e32 v5, v2
	v_bfi_b32 v4, 0x7fffffff, v4, v7
	s_xor_b32 s2, s2, s4
	v_add_f32_e32 v11, v11, v15
	v_cndmask_b32_e64 v7, 0x7f800000, 0, s2
	v_cmp_gt_f32_e64 s2, 0, v9
	v_cndmask_b32_e64 v42, 0x7fc00000, v4, s1
	v_cmp_eq_f32_e64 s1, 0x7f800000, v3
	v_mul_f32_e32 v15, 0.5, v2
	v_bfi_b32 v3, 0x7fffffff, v7, v41
	v_exp_f32_e32 v7, v11
	v_cndmask_b32_e64 v4, v4, v42, s2
	v_sub_f32_e32 v11, v38, v37
	s_or_b32 s1, s1, s4
	v_cvt_i32_f32_e32 v37, v40
	v_cmp_gt_f32_e64 s2, 0, v2
	v_cndmask_b32_e64 v3, v4, v3, s1
	v_cndmask_b32_e64 v4, s12, 1.0, vcc_lo
	v_sub_f32_e32 v11, v22, v11
	v_cmp_neq_f32_e64 vcc_lo, 0x7f800000, |v39|
	v_ldexp_f32 v7, v7, v37
	v_sub_f32_e32 v3, 1.0, v3
	v_trunc_f32_e32 v22, v15
	v_add_lshl_u32 v40, v6, v27, 2
	v_cndmask_b32_e32 v11, 0, v11, vcc_lo
	v_cmp_ngt_f32_e32 vcc_lo, 0xc2ce8ed0, v17
	v_cmp_eq_f32_e64 s3, 0, v4
	v_cmp_neq_f32_e64 s1, v22, v15
	v_add_lshl_u32 v39, v12, v25, 2
                                        ; implicit-def: $vgpr22
	v_cndmask_b32_e32 v7, 0, v7, vcc_lo
	v_cmp_o_f32_e32 vcc_lo, v9, v9
	v_add_f32_e32 v9, v14, v11
	s_xor_b32 s2, s2, s3
	v_cndmask_b32_e32 v3, 0x7fc00000, v3, vcc_lo
	v_cmp_nlt_f32_e32 vcc_lo, 0x42b17218, v17
	v_add_nc_u32_e32 v13, v19, v26
	v_and_b32_e32 v19, 0x7e, v6
	s_delay_alu instid0(VALU_DEP_4)
	v_cmp_gt_f32_e64 s4, 0xf800000, v3
	v_cndmask_b32_e32 v7, 0x7f800000, v7, vcc_lo
	v_cmp_eq_f32_e32 vcc_lo, v5, v2
	v_mul_f32_e32 v2, 0x4f800000, v3
	v_lshlrev_b32_e32 v46, 1, v13
	v_lshlrev_b32_e32 v48, 2, v13
	v_fma_f32 v5, v7, v9, v7
	v_cmp_class_f32_e64 s5, v7, 0x204
	v_cndmask_b32_e64 v2, v3, v2, s4
	s_and_b32 s1, vcc_lo, s1
	s_delay_alu instid0(SALU_CYCLE_1) | instskip(NEXT) | instid1(VALU_DEP_3)
	v_cndmask_b32_e64 v3, 1.0, v4, s1
	v_cndmask_b32_e64 v5, v5, v7, s5
	s_delay_alu instid0(VALU_DEP_3)
	v_sqrt_f32_e32 v7, v2
	v_cndmask_b32_e64 v9, 0, v4, s1
	v_cmp_eq_f32_e64 s1, 0x7f800000, v1
	v_add_co_u32 v37, s5, v18, v8
	v_bfi_b32 v3, 0x7fffffff, v5, v3
	v_cndmask_b32_e64 v5, 0x7f800000, 0, s2
	v_add_co_ci_u32_e64 v38, s5, 0, v20, s5
                                        ; implicit-def: $vgpr18
                                        ; implicit-def: $vgpr20
	s_delay_alu instid0(TRANS32_DEP_1) | instskip(NEXT) | instid1(VALU_DEP_4)
	v_add_nc_u32_e32 v6, -1, v7
	v_cndmask_b32_e32 v1, 0x7fc00000, v3, vcc_lo
	v_cmp_gt_f32_e32 vcc_lo, 0, v4
	v_add_nc_u32_e32 v11, 1, v7
	v_bfi_b32 v5, 0x7fffffff, v5, v9
	v_fma_f32 v12, -v6, v7, v2
	v_cndmask_b32_e32 v1, v3, v1, vcc_lo
	s_delay_alu instid0(VALU_DEP_4) | instskip(NEXT) | instid1(VALU_DEP_3)
	v_fma_f32 v3, -v11, v7, v2
	v_cmp_ge_f32_e32 vcc_lo, 0, v12
	v_cndmask_b32_e32 v6, v7, v6, vcc_lo
	v_add_co_u32 v41, vcc_lo, v10, v8
	v_add_co_ci_u32_e32 v42, vcc_lo, 0, v16, vcc_lo
	s_or_b32 vcc_lo, s1, s3
	s_lshl_b32 s1, s8, 2
	v_cndmask_b32_e32 v1, v1, v5, vcc_lo
	v_cmp_lt_f32_e32 vcc_lo, 0, v3
	s_sub_i32 s20, 0, s1
	s_delay_alu instid0(VALU_DEP_2) | instskip(SKIP_2) | instid1(VALU_DEP_3)
	v_dual_sub_f32 v0, 1.0, v1 :: v_dual_cndmask_b32 v3, v6, v11
	v_add_co_u32 v43, vcc_lo, v21, v43
	v_add_co_ci_u32_e32 v44, vcc_lo, 0, v23, vcc_lo
	v_mul_f32_e32 v5, 0x37800000, v3
	v_cmp_o_f32_e32 vcc_lo, v4, v4
	v_add_lshl_u32 v47, v19, v27, 1
                                        ; implicit-def: $vgpr8_vgpr9_vgpr10_vgpr11
	s_delay_alu instid0(VALU_DEP_3) | instskip(SKIP_2) | instid1(VALU_DEP_3)
	v_cndmask_b32_e64 v1, v3, v5, s4
	v_cndmask_b32_e32 v49, 0x7fc00000, v0, vcc_lo
	v_cmp_class_f32_e64 vcc_lo, v2, 0x260
                                        ; implicit-def: $vgpr4_vgpr5_vgpr6_vgpr7
	v_cndmask_b32_e32 v50, v1, v2, vcc_lo
                                        ; implicit-def: $vgpr0_vgpr1_vgpr2_vgpr3
	s_branch .LBB72_3
.LBB72_2:                               ;   in Loop: Header=BB72_3 Depth=1
	s_or_b32 exec_lo, exec_lo, s1
	s_add_i32 s10, s10, s17
	s_sub_i32 s20, s20, s17
	s_cmp_ge_u32 s10, s29
	s_cbranch_scc1 .LBB72_75
.LBB72_3:                               ; =>This Inner Loop Header: Depth=1
	s_add_i32 s1, s28, s20
	s_lshl_b64 s[6:7], s[10:11], 1
	s_min_u32 s4, s1, 0x1000
	v_add_co_u32 v12, vcc_lo, v35, s6
	v_add_co_ci_u32_e32 v13, vcc_lo, s7, v36, vcc_lo
	v_cmp_gt_u32_e64 s1, s4, v24
	s_waitcnt lgkmcnt(0)
	s_waitcnt_vscnt null, 0x0
	s_barrier
	buffer_gl0_inv
	s_and_saveexec_b32 s2, s1
	s_cbranch_execnz .LBB72_47
; %bb.4:                                ;   in Loop: Header=BB72_3 Depth=1
	s_or_b32 exec_lo, exec_lo, s2
	v_cmp_gt_u32_e64 s2, s4, v25
	s_delay_alu instid0(VALU_DEP_1)
	s_and_saveexec_b32 s3, s2
	s_cbranch_execnz .LBB72_48
.LBB72_5:                               ;   in Loop: Header=BB72_3 Depth=1
	s_or_b32 exec_lo, exec_lo, s3
	v_cmp_gt_u32_e64 s3, s4, v26
	s_delay_alu instid0(VALU_DEP_1)
	s_and_saveexec_b32 s5, s3
	s_cbranch_execnz .LBB72_49
.LBB72_6:                               ;   in Loop: Header=BB72_3 Depth=1
	s_or_b32 exec_lo, exec_lo, s5
	v_cmp_gt_u32_e64 s4, s4, v27
	s_delay_alu instid0(VALU_DEP_1)
	s_and_saveexec_b32 s5, s4
	s_cbranch_execz .LBB72_8
.LBB72_7:                               ;   in Loop: Header=BB72_3 Depth=1
	global_load_u16 v18, v[12:13], off offset:192
.LBB72_8:                               ;   in Loop: Header=BB72_3 Depth=1
	s_or_b32 exec_lo, exec_lo, s5
	s_waitcnt vmcnt(0)
	ds_store_b16 v29, v52
	ds_store_b16 v45, v20
	;; [unrolled: 1-line block ×4, first 2 shown]
	; wave barrier
	ds_load_b64 v[20:21], v30
	s_lshl_b64 s[8:9], s[10:11], 2
	s_waitcnt lgkmcnt(0)
	v_add_co_u32 v12, vcc_lo, v37, s8
	v_add_co_ci_u32_e32 v13, vcc_lo, s9, v38, vcc_lo
	s_barrier
	buffer_gl0_inv
	s_and_saveexec_b32 s5, s1
	s_cbranch_execnz .LBB72_50
; %bb.9:                                ;   in Loop: Header=BB72_3 Depth=1
	s_or_b32 exec_lo, exec_lo, s5
	s_and_saveexec_b32 s5, s2
	s_cbranch_execnz .LBB72_51
.LBB72_10:                              ;   in Loop: Header=BB72_3 Depth=1
	s_or_b32 exec_lo, exec_lo, s5
	s_and_saveexec_b32 s5, s3
	s_cbranch_execnz .LBB72_52
.LBB72_11:                              ;   in Loop: Header=BB72_3 Depth=1
	s_or_b32 exec_lo, exec_lo, s5
	s_and_saveexec_b32 s5, s4
	s_cbranch_execz .LBB72_13
.LBB72_12:                              ;   in Loop: Header=BB72_3 Depth=1
	global_load_b32 v11, v[12:13], off offset:384
.LBB72_13:                              ;   in Loop: Header=BB72_3 Depth=1
	s_or_b32 exec_lo, exec_lo, s5
	s_waitcnt vmcnt(0)
	ds_store_b32 v31, v8
	ds_store_b32 v39, v9
	;; [unrolled: 1-line block ×4, first 2 shown]
	; wave barrier
	ds_load_2addr_b32 v[18:19], v28 offset1:1
	ds_load_2addr_b32 v[8:9], v28 offset0:2 offset1:3
	v_add_co_u32 v14, vcc_lo, v41, s8
	v_add_co_ci_u32_e32 v15, vcc_lo, s9, v42, vcc_lo
	s_waitcnt lgkmcnt(0)
	s_barrier
	buffer_gl0_inv
	s_and_saveexec_b32 s5, s1
	s_cbranch_execnz .LBB72_53
; %bb.14:                               ;   in Loop: Header=BB72_3 Depth=1
	s_or_b32 exec_lo, exec_lo, s5
	s_and_saveexec_b32 s5, s2
	s_cbranch_execnz .LBB72_54
.LBB72_15:                              ;   in Loop: Header=BB72_3 Depth=1
	s_or_b32 exec_lo, exec_lo, s5
	s_and_saveexec_b32 s5, s3
	s_cbranch_execnz .LBB72_55
.LBB72_16:                              ;   in Loop: Header=BB72_3 Depth=1
	s_or_b32 exec_lo, exec_lo, s5
	s_and_saveexec_b32 s5, s4
	s_cbranch_execz .LBB72_18
.LBB72_17:                              ;   in Loop: Header=BB72_3 Depth=1
	global_load_b32 v7, v[14:15], off offset:384
.LBB72_18:                              ;   in Loop: Header=BB72_3 Depth=1
	s_or_b32 exec_lo, exec_lo, s5
	s_waitcnt vmcnt(0)
	ds_store_b32 v31, v4
	ds_store_b32 v39, v5
	;; [unrolled: 1-line block ×4, first 2 shown]
	; wave barrier
	ds_load_2addr_b32 v[22:23], v28 offset1:1
	ds_load_2addr_b32 v[10:11], v28 offset0:2 offset1:3
	v_add_co_u32 v4, vcc_lo, v43, s6
	v_add_co_ci_u32_e32 v5, vcc_lo, s7, v44, vcc_lo
	s_waitcnt lgkmcnt(0)
	s_barrier
	buffer_gl0_inv
	s_and_saveexec_b32 s5, s1
	s_cbranch_execnz .LBB72_56
; %bb.19:                               ;   in Loop: Header=BB72_3 Depth=1
	s_or_b32 exec_lo, exec_lo, s5
	s_and_saveexec_b32 s5, s2
	s_cbranch_execnz .LBB72_57
.LBB72_20:                              ;   in Loop: Header=BB72_3 Depth=1
	s_or_b32 exec_lo, exec_lo, s5
	s_and_saveexec_b32 s5, s3
	s_cbranch_execnz .LBB72_58
.LBB72_21:                              ;   in Loop: Header=BB72_3 Depth=1
	s_or_b32 exec_lo, exec_lo, s5
	s_and_saveexec_b32 s5, s4
	s_cbranch_execz .LBB72_23
.LBB72_22:                              ;   in Loop: Header=BB72_3 Depth=1
	global_load_u16 v54, v[4:5], off offset:192
.LBB72_23:                              ;   in Loop: Header=BB72_3 Depth=1
	s_or_b32 exec_lo, exec_lo, s5
	s_waitcnt vmcnt(0)
	ds_store_b16 v29, v57
	ds_store_b16 v45, v56
	;; [unrolled: 1-line block ×4, first 2 shown]
	; wave barrier
	ds_load_b64 v[6:7], v30
	s_add_i32 s6, s28, s10
	s_mov_b32 s7, s11
	s_waitcnt lgkmcnt(0)
	s_lshl_b64 s[6:7], s[6:7], 2
	s_barrier
	v_add_co_u32 v16, vcc_lo, v37, s6
	v_add_co_ci_u32_e32 v17, vcc_lo, s7, v38, vcc_lo
	buffer_gl0_inv
	s_and_saveexec_b32 s5, s1
	s_cbranch_execnz .LBB72_59
; %bb.24:                               ;   in Loop: Header=BB72_3 Depth=1
	s_or_b32 exec_lo, exec_lo, s5
	s_and_saveexec_b32 s5, s2
	s_cbranch_execnz .LBB72_60
.LBB72_25:                              ;   in Loop: Header=BB72_3 Depth=1
	s_or_b32 exec_lo, exec_lo, s5
	s_and_saveexec_b32 s5, s3
	s_cbranch_execnz .LBB72_61
.LBB72_26:                              ;   in Loop: Header=BB72_3 Depth=1
	s_or_b32 exec_lo, exec_lo, s5
	s_and_saveexec_b32 s5, s4
	s_cbranch_execz .LBB72_28
.LBB72_27:                              ;   in Loop: Header=BB72_3 Depth=1
	global_load_b32 v3, v[16:17], off offset:384
.LBB72_28:                              ;   in Loop: Header=BB72_3 Depth=1
	s_or_b32 exec_lo, exec_lo, s5
	v_fma_mixlo_f16 v52, v20, s18, 0 op_sel_hi:[1,0,0]
	v_fma_mixlo_f16 v20, v20, s18, 0 op_sel:[1,0,0] op_sel_hi:[1,0,0]
	s_waitcnt vmcnt(0)
	ds_store_b32 v31, v0
	ds_store_b32 v39, v1
	ds_store_b32 v48, v2
	ds_store_b32 v40, v3
	v_cvt_f32_f16_e32 v58, v52
	; wave barrier
	s_delay_alu instid0(VALU_DEP_1) | instskip(NEXT) | instid1(VALU_DEP_1)
	v_mul_f32_e32 v53, v34, v58
	v_mul_f32_e32 v53, v53, v58
	s_delay_alu instid0(VALU_DEP_1) | instskip(NEXT) | instid1(VALU_DEP_1)
	v_fmac_f32_e32 v53, s13, v22
	v_mul_f32_e32 v22, 0x4f800000, v53
	v_cmp_gt_f32_e32 vcc_lo, 0xf800000, v53
	s_delay_alu instid0(VALU_DEP_2) | instskip(NEXT) | instid1(VALU_DEP_1)
	v_cndmask_b32_e32 v22, v53, v22, vcc_lo
	v_sqrt_f32_e32 v54, v22
	s_waitcnt_depctr 0xfff
	v_add_nc_u32_e32 v55, -1, v54
	v_add_nc_u32_e32 v56, 1, v54
	s_delay_alu instid0(VALU_DEP_2) | instskip(NEXT) | instid1(VALU_DEP_2)
	v_fma_f32 v57, -v55, v54, v22
	v_fma_f32 v59, -v56, v54, v22
	s_delay_alu instid0(VALU_DEP_2) | instskip(NEXT) | instid1(VALU_DEP_1)
	v_cmp_ge_f32_e64 s5, 0, v57
	v_cndmask_b32_e64 v54, v54, v55, s5
	s_delay_alu instid0(VALU_DEP_3) | instskip(SKIP_1) | instid1(VALU_DEP_2)
	v_cmp_lt_f32_e64 s5, 0, v59
	v_cvt_f32_f16_e32 v59, v20
	v_cndmask_b32_e64 v54, v54, v56, s5
	s_delay_alu instid0(VALU_DEP_2) | instskip(NEXT) | instid1(VALU_DEP_2)
	v_mul_f32_e32 v2, v34, v59
	v_mul_f32_e32 v0, 0x37800000, v54
	s_delay_alu instid0(VALU_DEP_1) | instskip(NEXT) | instid1(VALU_DEP_3)
	v_cndmask_b32_e32 v3, v54, v0, vcc_lo
	v_mul_f32_e32 v0, v2, v59
	v_cmp_class_f32_e64 vcc_lo, v22, 0x260
	ds_load_2addr_b32 v[54:55], v28 offset1:1
	ds_load_2addr_b32 v[56:57], v28 offset0:2 offset1:3
	s_waitcnt lgkmcnt(0)
	s_barrier
	v_dual_fmac_f32 v0, s13, v23 :: v_dual_mul_f32 v1, v32, v58
	v_cndmask_b32_e32 v60, v3, v22, vcc_lo
	v_fma_mixlo_f16 v22, v21, s18, 0 op_sel_hi:[1,0,0]
	buffer_gl0_inv
	v_mul_f32_e32 v2, 0x4f800000, v0
	v_cmp_gt_f32_e64 s5, 0xf800000, v0
	v_cvt_f32_f16_e32 v65, v22
	v_fmac_f32_e32 v1, s12, v18
	v_fma_mixlo_f16 v18, v21, s18, 0 op_sel:[1,0,0] op_sel_hi:[1,0,0]
	s_delay_alu instid0(VALU_DEP_4) | instskip(NEXT) | instid1(VALU_DEP_4)
	v_cndmask_b32_e64 v64, v0, v2, s5
	v_mul_f32_e32 v74, v34, v65
	s_delay_alu instid0(VALU_DEP_4) | instskip(SKIP_2) | instid1(VALU_DEP_3)
	v_div_scale_f32 v61, null, v49, v49, v1
	v_div_scale_f32 v67, vcc_lo, v1, v49, v1
	v_cvt_f32_f16_e32 v66, v18
	v_rcp_f32_e32 v62, v61
	s_waitcnt_depctr 0xfff
	v_fma_f32 v3, -v61, v62, 1.0
	s_delay_alu instid0(VALU_DEP_1) | instskip(SKIP_2) | instid1(VALU_DEP_3)
	v_dual_fmac_f32 v62, v3, v62 :: v_dual_mul_f32 v3, v33, v59
	v_div_scale_f32 v23, null, v50, v50, v60
	v_div_scale_f32 v68, s6, v60, v50, v60
	v_fmac_f32_e32 v3, s14, v55
	s_delay_alu instid0(VALU_DEP_3) | instskip(SKIP_2) | instid1(VALU_DEP_1)
	v_rcp_f32_e32 v63, v23
	s_waitcnt_depctr 0xfff
	v_fma_f32 v21, -v23, v63, 1.0
	v_fmac_f32_e32 v63, v21, v63
	v_dual_mul_f32 v21, v32, v59 :: v_dual_mul_f32 v2, v33, v58
	v_sqrt_f32_e32 v58, v64
	s_delay_alu instid0(VALU_DEP_2) | instskip(NEXT) | instid1(VALU_DEP_2)
	v_mul_f32_e32 v59, v68, v63
	v_fmac_f32_e32 v21, s12, v19
	v_mul_f32_e32 v69, v67, v62
	v_fmac_f32_e32 v2, s14, v54
	s_delay_alu instid0(VALU_DEP_4) | instskip(NEXT) | instid1(VALU_DEP_3)
	v_fma_f32 v75, -v23, v59, v68
	v_fma_f32 v72, -v61, v69, v67
	s_delay_alu instid0(TRANS32_DEP_1) | instskip(SKIP_1) | instid1(VALU_DEP_4)
	v_add_nc_u32_e32 v70, -1, v58
	v_add_nc_u32_e32 v71, 1, v58
	v_fmac_f32_e32 v59, v75, v63
	s_delay_alu instid0(VALU_DEP_4) | instskip(NEXT) | instid1(VALU_DEP_4)
	v_fmac_f32_e32 v69, v72, v62
	v_fma_f32 v73, -v70, v58, v64
	s_delay_alu instid0(VALU_DEP_3) | instskip(NEXT) | instid1(VALU_DEP_3)
	v_fma_f32 v23, -v23, v59, v68
	v_fma_f32 v19, -v61, v69, v67
	s_delay_alu instid0(VALU_DEP_3) | instskip(NEXT) | instid1(VALU_DEP_2)
	v_cmp_ge_f32_e64 s7, 0, v73
	v_div_fmas_f32 v61, v19, v62, v69
	v_mul_f32_e32 v19, v74, v65
	s_mov_b32 vcc_lo, s6
	v_div_scale_f32 v69, s6, v21, v49, v21
	v_div_fmas_f32 v23, v23, v63, v59
	s_delay_alu instid0(VALU_DEP_3) | instskip(SKIP_2) | instid1(VALU_DEP_4)
	v_dual_fmac_f32 v19, s13, v10 :: v_dual_mul_f32 v10, v32, v65
	v_fma_f32 v76, -v71, v58, v64
	v_cndmask_b32_e64 v58, v58, v70, s7
	v_div_fixup_f32 v23, v23, v50, v60
	v_div_scale_f32 v59, null, v49, v49, v21
	s_delay_alu instid0(VALU_DEP_4) | instskip(SKIP_1) | instid1(VALU_DEP_4)
	v_cmp_lt_f32_e64 s7, 0, v76
	v_cmp_class_f32_e64 vcc_lo, v64, 0x260
	v_add_f32_e32 v60, s16, v23
	v_fmac_f32_e32 v10, s12, v8
	v_div_fixup_f32 v61, v61, v49, v1
	v_cndmask_b32_e64 v58, v58, v71, s7
	s_delay_alu instid0(VALU_DEP_1) | instskip(NEXT) | instid1(VALU_DEP_1)
	v_mul_f32_e32 v54, 0x37800000, v58
	v_cndmask_b32_e64 v54, v58, v54, s5
	s_delay_alu instid0(VALU_DEP_1) | instskip(SKIP_3) | instid1(VALU_DEP_1)
	v_cndmask_b32_e32 v23, v54, v64, vcc_lo
	v_rcp_f32_e32 v54, v59
	s_waitcnt_depctr 0xfff
	v_fma_f32 v8, -v59, v54, 1.0
	v_fmac_f32_e32 v54, v8, v54
	v_div_scale_f32 v62, null, v50, v50, v23
	s_delay_alu instid0(VALU_DEP_1) | instskip(SKIP_2) | instid1(VALU_DEP_1)
	v_rcp_f32_e32 v68, v62
	s_waitcnt_depctr 0xfff
	v_fma_f32 v8, -v62, v68, 1.0
	v_dual_fmac_f32 v61, s15, v2 :: v_dual_fmac_f32 v68, v8, v68
	s_delay_alu instid0(VALU_DEP_1) | instskip(SKIP_2) | instid1(VALU_DEP_3)
	v_div_scale_f32 v58, null, v60, v60, v61
	v_mul_f32_e32 v8, v69, v54
	v_div_scale_f32 v72, vcc_lo, v61, v60, v61
	v_rcp_f32_e32 v64, v58
	s_delay_alu instid0(VALU_DEP_2) | instskip(NEXT) | instid1(VALU_DEP_1)
	v_fma_f32 v77, -v59, v8, v69
	v_fmac_f32_e32 v8, v77, v54
	s_waitcnt_depctr 0xfff
	v_fma_f32 v71, -v58, v64, 1.0
	v_fma_f32 v59, -v59, v8, v69
	s_delay_alu instid0(VALU_DEP_2) | instskip(SKIP_2) | instid1(VALU_DEP_3)
	v_dual_fmac_f32 v64, v71, v64 :: v_dual_mul_f32 v63, 0x4f800000, v19
	v_cmp_gt_f32_e64 s5, 0xf800000, v19
	v_div_scale_f32 v71, s7, v23, v50, v23
	v_mul_f32_e32 v73, v72, v64
	v_mul_f32_e32 v67, v34, v66
	s_delay_alu instid0(VALU_DEP_4) | instskip(NEXT) | instid1(VALU_DEP_4)
	v_cndmask_b32_e64 v63, v19, v63, s5
	v_mul_f32_e32 v76, v71, v68
	s_delay_alu instid0(VALU_DEP_4) | instskip(NEXT) | instid1(VALU_DEP_3)
	v_fma_f32 v78, -v58, v73, v72
	v_sqrt_f32_e32 v70, v63
	s_delay_alu instid0(VALU_DEP_2) | instskip(NEXT) | instid1(VALU_DEP_2)
	v_fma_f32 v81, -v62, v76, v71
	v_fmac_f32_e32 v73, v78, v64
	s_delay_alu instid0(VALU_DEP_2) | instskip(NEXT) | instid1(VALU_DEP_2)
	v_fmac_f32_e32 v76, v81, v68
	v_fma_f32 v58, -v58, v73, v72
	s_waitcnt_depctr 0xfff
	v_add_nc_u32_e32 v74, -1, v70
	v_add_nc_u32_e32 v75, 1, v70
	v_fma_f32 v62, -v62, v76, v71
	v_div_fmas_f32 v64, v58, v64, v73
	s_mov_b32 vcc_lo, s6
	v_fma_f32 v79, -v74, v70, v63
	v_fma_f32 v80, -v75, v70, v63
	v_div_fmas_f32 v8, v59, v54, v8
	s_mov_b32 vcc_lo, s7
	v_div_scale_f32 v71, s6, v10, v49, v10
	v_cmp_ge_f32_e64 s8, 0, v79
	v_div_fmas_f32 v54, v62, v68, v76
	v_div_fixup_f32 v62, v8, v49, v21
	v_cmp_class_f32_e64 vcc_lo, v63, 0x260
	v_div_fixup_f32 v60, v64, v60, v61
	v_cndmask_b32_e64 v70, v70, v74, s8
	v_cmp_lt_f32_e64 s8, 0, v80
	v_div_fixup_f32 v8, v54, v50, v23
	v_fmac_f32_e32 v62, s15, v3
	v_div_scale_f32 v54, null, v49, v49, v10
	s_delay_alu instid0(VALU_DEP_4) | instskip(SKIP_1) | instid1(VALU_DEP_3)
	v_cndmask_b32_e64 v69, v70, v75, s8
	v_mul_f32_e32 v58, v67, v66
	v_rcp_f32_e32 v59, v54
	s_delay_alu instid0(VALU_DEP_1) | instskip(SKIP_1) | instid1(VALU_DEP_2)
	v_dual_mul_f32 v55, 0x37800000, v69 :: v_dual_fmac_f32 v58, s13, v11
	v_add_f32_e32 v11, s16, v8
	v_cndmask_b32_e64 v23, v69, v55, s5
	s_delay_alu instid0(VALU_DEP_3)
	v_mul_f32_e32 v8, 0x4f800000, v58
	v_cmp_gt_f32_e64 s5, 0xf800000, v58
	s_waitcnt_depctr 0xfff
	v_fma_f32 v70, -v54, v59, 1.0
	v_cndmask_b32_e32 v55, v23, v63, vcc_lo
	v_mul_f32_e32 v23, v33, v65
	v_div_scale_f32 v63, null, v11, v11, v62
	v_cndmask_b32_e64 v69, v58, v8, s5
	s_delay_alu instid0(VALU_DEP_4) | instskip(NEXT) | instid1(VALU_DEP_3)
	v_div_scale_f32 v67, null, v50, v50, v55
	v_rcp_f32_e32 v68, v63
	v_dual_mul_f32 v8, v32, v66 :: v_dual_fmac_f32 v59, v70, v59
	s_delay_alu instid0(VALU_DEP_2) | instskip(SKIP_2) | instid1(VALU_DEP_2)
	v_rcp_f32_e32 v65, v67
	v_sqrt_f32_e32 v72, v69
	v_div_scale_f32 v74, vcc_lo, v62, v11, v62
	v_dual_fmac_f32 v23, s14, v56 :: v_dual_fmac_f32 v8, s12, v9
	s_delay_alu instid0(TRANS32_DEP_3)
	v_fma_f32 v73, -v63, v68, 1.0
	s_waitcnt_depctr 0xfff
	v_fma_f32 v70, -v67, v65, 1.0
	v_add_nc_u32_e32 v76, -1, v72
	v_fmac_f32_e32 v68, v73, v68
	v_div_scale_f32 v73, s7, v55, v50, v55
	s_delay_alu instid0(VALU_DEP_4) | instskip(NEXT) | instid1(VALU_DEP_3)
	v_dual_fmac_f32 v65, v70, v65 :: v_dual_mul_f32 v70, v71, v59
	v_mul_f32_e32 v75, v74, v68
	v_add_nc_u32_e32 v77, 1, v72
	v_fma_f32 v81, -v76, v72, v69
	s_delay_alu instid0(VALU_DEP_4)
	v_mul_f32_e32 v78, v73, v65
	v_fma_f32 v79, -v54, v70, v71
	v_fma_f32 v80, -v63, v75, v74
	;; [unrolled: 1-line block ×3, first 2 shown]
	v_cmp_ge_f32_e64 s8, 0, v81
	v_fma_f32 v83, -v67, v78, v73
	s_delay_alu instid0(VALU_DEP_4) | instskip(NEXT) | instid1(VALU_DEP_3)
	v_dual_fmac_f32 v70, v79, v59 :: v_dual_fmac_f32 v75, v80, v68
	v_cndmask_b32_e64 v72, v72, v76, s8
	s_delay_alu instid0(VALU_DEP_3) | instskip(NEXT) | instid1(VALU_DEP_3)
	v_fmac_f32_e32 v78, v83, v65
	v_fma_f32 v54, -v54, v70, v71
	s_delay_alu instid0(VALU_DEP_4) | instskip(SKIP_1) | instid1(VALU_DEP_4)
	v_fma_f32 v63, -v63, v75, v74
	v_cmp_lt_f32_e64 s8, 0, v82
	v_fma_f32 v67, -v67, v78, v73
	s_delay_alu instid0(VALU_DEP_3) | instskip(SKIP_1) | instid1(VALU_DEP_3)
	v_div_fmas_f32 v63, v63, v68, v75
	s_mov_b32 vcc_lo, s6
	v_cndmask_b32_e64 v71, v72, v77, s8
	v_div_fmas_f32 v54, v54, v59, v70
	s_mov_b32 vcc_lo, s7
	v_div_fixup_f32 v11, v63, v11, v62
	v_div_fmas_f32 v59, v67, v65, v78
	v_mul_f32_e32 v65, 0x37800000, v71
	v_div_fixup_f32 v9, v54, v49, v10
	v_cmp_class_f32_e64 vcc_lo, v69, 0x260
	s_delay_alu instid0(VALU_DEP_4) | instskip(NEXT) | instid1(VALU_DEP_4)
	v_div_fixup_f32 v54, v59, v50, v55
	v_cndmask_b32_e64 v55, v71, v65, s5
	s_delay_alu instid0(VALU_DEP_4) | instskip(SKIP_1) | instid1(VALU_DEP_3)
	v_fmac_f32_e32 v9, s15, v23
	v_div_scale_f32 v56, null, v49, v49, v8
	v_dual_add_f32 v54, s16, v54 :: v_dual_cndmask_b32 v55, v55, v69
	v_div_scale_f32 v71, s5, v8, v49, v8
	s_delay_alu instid0(VALU_DEP_3) | instskip(NEXT) | instid1(VALU_DEP_2)
	v_rcp_f32_e32 v65, v56
	v_div_scale_f32 v67, null, v54, v54, v9
	s_delay_alu instid0(VALU_DEP_3) | instskip(SKIP_1) | instid1(VALU_DEP_3)
	v_div_scale_f32 v68, null, v50, v50, v55
	v_div_scale_f32 v73, vcc_lo, v9, v54, v9
	v_rcp_f32_e32 v69, v67
	s_delay_alu instid0(VALU_DEP_2) | instskip(NEXT) | instid1(TRANS32_DEP_3)
	v_rcp_f32_e32 v70, v68
	v_fma_f32 v59, -v56, v65, 1.0
	s_waitcnt_depctr 0xfff
	v_fma_f32 v72, -v67, v69, 1.0
	s_delay_alu instid0(VALU_DEP_1) | instskip(SKIP_3) | instid1(VALU_DEP_1)
	v_fmac_f32_e32 v69, v72, v69
	v_div_scale_f32 v72, s6, v55, v50, v55
	v_fmac_f32_e32 v65, v59, v65
	v_fma_f32 v59, -v68, v70, 1.0
	v_fmac_f32_e32 v70, v59, v70
	v_mul_f32_e32 v74, v73, v69
	s_delay_alu instid0(VALU_DEP_2) | instskip(NEXT) | instid1(VALU_DEP_2)
	v_mul_f32_e32 v76, v72, v70
	v_fma_f32 v59, -v67, v74, v73
	s_delay_alu instid0(VALU_DEP_2) | instskip(SKIP_1) | instid1(VALU_DEP_3)
	v_fma_f32 v78, -v68, v76, v72
	v_mul_f32_e32 v75, v71, v65
	v_dual_fmac_f32 v74, v59, v69 :: v_dual_mul_f32 v59, v33, v66
	s_delay_alu instid0(VALU_DEP_3) | instskip(NEXT) | instid1(VALU_DEP_3)
	v_fmac_f32_e32 v76, v78, v70
	v_fma_f32 v77, -v56, v75, v71
	s_delay_alu instid0(VALU_DEP_3) | instskip(NEXT) | instid1(VALU_DEP_4)
	v_fma_f32 v66, -v67, v74, v73
	v_fmac_f32_e32 v59, s14, v57
	s_delay_alu instid0(VALU_DEP_4) | instskip(NEXT) | instid1(VALU_DEP_4)
	v_fma_f32 v67, -v68, v76, v72
	v_fmac_f32_e32 v75, v77, v65
	s_delay_alu instid0(VALU_DEP_4) | instskip(SKIP_1) | instid1(VALU_DEP_2)
	v_div_fmas_f32 v66, v66, v69, v74
	s_mov_b32 vcc_lo, s5
	v_fma_f32 v56, -v56, v75, v71
	s_delay_alu instid0(VALU_DEP_2) | instskip(NEXT) | instid1(VALU_DEP_2)
	v_div_fixup_f32 v9, v66, v54, v9
	v_div_fmas_f32 v56, v56, v65, v75
	s_mov_b32 vcc_lo, s6
	s_delay_alu instid0(VALU_DEP_2) | instskip(SKIP_1) | instid1(VALU_DEP_3)
	v_fma_mixlo_f16 v9, -v9, s19, v7 op_sel_hi:[0,0,1]
	v_div_fmas_f32 v65, v67, v70, v76
	v_div_fixup_f32 v56, v56, v49, v8
	s_delay_alu instid0(VALU_DEP_2) | instskip(NEXT) | instid1(VALU_DEP_2)
	v_div_fixup_f32 v55, v65, v50, v55
	v_fmac_f32_e32 v56, s15, v59
	s_delay_alu instid0(VALU_DEP_2) | instskip(NEXT) | instid1(VALU_DEP_1)
	v_add_f32_e32 v55, s16, v55
	v_div_scale_f32 v57, null, v55, v55, v56
	v_div_scale_f32 v68, vcc_lo, v56, v55, v56
	s_delay_alu instid0(VALU_DEP_2) | instskip(SKIP_2) | instid1(VALU_DEP_1)
	v_rcp_f32_e32 v65, v57
	s_waitcnt_depctr 0xfff
	v_fma_f32 v67, -v57, v65, 1.0
	v_fmac_f32_e32 v65, v67, v65
	s_delay_alu instid0(VALU_DEP_1) | instskip(NEXT) | instid1(VALU_DEP_1)
	v_mul_f32_e32 v67, v68, v65
	v_fma_f32 v69, -v57, v67, v68
	s_delay_alu instid0(VALU_DEP_1) | instskip(NEXT) | instid1(VALU_DEP_1)
	v_fmac_f32_e32 v67, v69, v65
	v_fma_f32 v57, -v57, v67, v68
	s_delay_alu instid0(VALU_DEP_1) | instskip(NEXT) | instid1(VALU_DEP_1)
	v_div_fmas_f32 v57, v57, v65, v67
	v_div_fixup_f32 v54, v57, v55, v56
	v_fma_mixlo_f16 v55, -v60, s19, v6 op_sel_hi:[0,0,1]
	v_fma_mixlo_f16 v6, -v11, s19, v6 op_sel:[0,0,1] op_sel_hi:[0,0,1]
	v_fma_mixlo_f16 v56, v51, v9, 0 op_sel_hi:[0,1,0]
	s_delay_alu instid0(VALU_DEP_4) | instskip(NEXT) | instid1(VALU_DEP_4)
	v_fma_mixlo_f16 v7, -v54, s19, v7 op_sel:[0,0,1] op_sel_hi:[0,0,1]
	v_fma_mixlo_f16 v11, v51, v55, 0 op_sel_hi:[0,1,0]
	s_delay_alu instid0(VALU_DEP_4) | instskip(NEXT) | instid1(VALU_DEP_4)
	v_fma_mixlo_f16 v54, v51, v6, 0 op_sel_hi:[0,1,0]
	v_cndmask_b32_e64 v9, v9, v56, s0
	s_delay_alu instid0(VALU_DEP_4) | instskip(NEXT) | instid1(VALU_DEP_4)
	v_fma_mixlo_f16 v57, v51, v7, 0 op_sel_hi:[0,1,0]
	v_cndmask_b32_e64 v11, v55, v11, s0
	s_delay_alu instid0(VALU_DEP_4) | instskip(NEXT) | instid1(VALU_DEP_3)
	v_cndmask_b32_e64 v6, v6, v54, s0
	v_cndmask_b32_e64 v7, v7, v57, s0
	s_delay_alu instid0(VALU_DEP_2) | instskip(NEXT) | instid1(VALU_DEP_2)
	v_pack_b32_f16 v6, v11, v6
	v_pack_b32_f16 v7, v9, v7
	ds_store_b64 v30, v[6:7]
	; wave barrier
	ds_load_u16 v57, v29
	ds_load_u16 v56, v45
	;; [unrolled: 1-line block ×4, first 2 shown]
	s_and_saveexec_b32 s5, s1
	s_cbranch_execnz .LBB72_62
; %bb.29:                               ;   in Loop: Header=BB72_3 Depth=1
	s_or_b32 exec_lo, exec_lo, s5
	s_and_saveexec_b32 s5, s2
	s_cbranch_execnz .LBB72_63
.LBB72_30:                              ;   in Loop: Header=BB72_3 Depth=1
	s_or_b32 exec_lo, exec_lo, s5
	s_and_saveexec_b32 s5, s3
	s_cbranch_execnz .LBB72_64
.LBB72_31:                              ;   in Loop: Header=BB72_3 Depth=1
	s_or_b32 exec_lo, exec_lo, s5
	s_and_saveexec_b32 s5, s4
	s_cbranch_execz .LBB72_33
.LBB72_32:                              ;   in Loop: Header=BB72_3 Depth=1
	s_waitcnt lgkmcnt(0)
	global_store_b16 v[4:5], v54, off offset:192
.LBB72_33:                              ;   in Loop: Header=BB72_3 Depth=1
	s_or_b32 exec_lo, exec_lo, s5
	s_waitcnt lgkmcnt(0)
	s_waitcnt_vscnt null, 0x0
	s_barrier
	buffer_gl0_inv
	ds_store_2addr_b32 v28, v1, v21 offset1:1
	ds_store_2addr_b32 v28, v10, v8 offset0:2 offset1:3
	; wave barrier
	ds_load_b32 v8, v31
	ds_load_b32 v9, v39
	;; [unrolled: 1-line block ×4, first 2 shown]
	s_and_saveexec_b32 s5, s1
	s_cbranch_execnz .LBB72_65
; %bb.34:                               ;   in Loop: Header=BB72_3 Depth=1
	s_or_b32 exec_lo, exec_lo, s5
	s_and_saveexec_b32 s5, s2
	s_cbranch_execnz .LBB72_66
.LBB72_35:                              ;   in Loop: Header=BB72_3 Depth=1
	s_or_b32 exec_lo, exec_lo, s5
	s_and_saveexec_b32 s5, s3
	s_cbranch_execnz .LBB72_67
.LBB72_36:                              ;   in Loop: Header=BB72_3 Depth=1
	s_or_b32 exec_lo, exec_lo, s5
	s_and_saveexec_b32 s5, s4
	s_cbranch_execz .LBB72_38
.LBB72_37:                              ;   in Loop: Header=BB72_3 Depth=1
	s_waitcnt lgkmcnt(0)
	global_store_b32 v[12:13], v11, off offset:384
.LBB72_38:                              ;   in Loop: Header=BB72_3 Depth=1
	s_or_b32 exec_lo, exec_lo, s5
	s_waitcnt lgkmcnt(0)
	s_waitcnt_vscnt null, 0x0
	s_barrier
	buffer_gl0_inv
	ds_store_2addr_b32 v28, v53, v0 offset1:1
	ds_store_2addr_b32 v28, v19, v58 offset0:2 offset1:3
	; wave barrier
	ds_load_b32 v4, v31
	ds_load_b32 v5, v39
	;; [unrolled: 1-line block ×4, first 2 shown]
	s_and_saveexec_b32 s5, s1
	s_cbranch_execnz .LBB72_68
; %bb.39:                               ;   in Loop: Header=BB72_3 Depth=1
	s_or_b32 exec_lo, exec_lo, s5
	s_and_saveexec_b32 s5, s2
	s_cbranch_execnz .LBB72_69
.LBB72_40:                              ;   in Loop: Header=BB72_3 Depth=1
	s_or_b32 exec_lo, exec_lo, s5
	s_and_saveexec_b32 s5, s3
	s_cbranch_execnz .LBB72_70
.LBB72_41:                              ;   in Loop: Header=BB72_3 Depth=1
	s_or_b32 exec_lo, exec_lo, s5
	s_and_saveexec_b32 s5, s4
	s_cbranch_execz .LBB72_43
.LBB72_42:                              ;   in Loop: Header=BB72_3 Depth=1
	s_waitcnt lgkmcnt(0)
	global_store_b32 v[14:15], v7, off offset:384
.LBB72_43:                              ;   in Loop: Header=BB72_3 Depth=1
	s_or_b32 exec_lo, exec_lo, s5
	s_waitcnt lgkmcnt(0)
	s_waitcnt_vscnt null, 0x0
	s_barrier
	buffer_gl0_inv
	ds_store_2addr_b32 v28, v2, v3 offset1:1
	ds_store_2addr_b32 v28, v23, v59 offset0:2 offset1:3
	; wave barrier
	ds_load_b32 v0, v31
	ds_load_b32 v1, v39
	;; [unrolled: 1-line block ×4, first 2 shown]
	s_and_saveexec_b32 s5, s1
	s_cbranch_execnz .LBB72_71
; %bb.44:                               ;   in Loop: Header=BB72_3 Depth=1
	s_or_b32 exec_lo, exec_lo, s5
	s_and_saveexec_b32 s1, s2
	s_cbranch_execnz .LBB72_72
.LBB72_45:                              ;   in Loop: Header=BB72_3 Depth=1
	s_or_b32 exec_lo, exec_lo, s1
	s_and_saveexec_b32 s1, s3
	s_cbranch_execnz .LBB72_73
.LBB72_46:                              ;   in Loop: Header=BB72_3 Depth=1
	s_or_b32 exec_lo, exec_lo, s1
	s_and_saveexec_b32 s1, s4
	s_cbranch_execz .LBB72_2
	s_branch .LBB72_74
.LBB72_47:                              ;   in Loop: Header=BB72_3 Depth=1
	global_load_u16 v52, v[12:13], off
	s_or_b32 exec_lo, exec_lo, s2
	v_cmp_gt_u32_e64 s2, s4, v25
	s_delay_alu instid0(VALU_DEP_1)
	s_and_saveexec_b32 s3, s2
	s_cbranch_execz .LBB72_5
.LBB72_48:                              ;   in Loop: Header=BB72_3 Depth=1
	global_load_u16 v20, v[12:13], off offset:64
	s_or_b32 exec_lo, exec_lo, s3
	v_cmp_gt_u32_e64 s3, s4, v26
	s_delay_alu instid0(VALU_DEP_1)
	s_and_saveexec_b32 s5, s3
	s_cbranch_execz .LBB72_6
.LBB72_49:                              ;   in Loop: Header=BB72_3 Depth=1
	global_load_u16 v22, v[12:13], off offset:128
	s_or_b32 exec_lo, exec_lo, s5
	v_cmp_gt_u32_e64 s4, s4, v27
	s_delay_alu instid0(VALU_DEP_1)
	s_and_saveexec_b32 s5, s4
	s_cbranch_execnz .LBB72_7
	s_branch .LBB72_8
.LBB72_50:                              ;   in Loop: Header=BB72_3 Depth=1
	global_load_b32 v8, v[12:13], off
	s_or_b32 exec_lo, exec_lo, s5
	s_and_saveexec_b32 s5, s2
	s_cbranch_execz .LBB72_10
.LBB72_51:                              ;   in Loop: Header=BB72_3 Depth=1
	global_load_b32 v9, v[12:13], off offset:128
	s_or_b32 exec_lo, exec_lo, s5
	s_and_saveexec_b32 s5, s3
	s_cbranch_execz .LBB72_11
.LBB72_52:                              ;   in Loop: Header=BB72_3 Depth=1
	global_load_b32 v10, v[12:13], off offset:256
	s_or_b32 exec_lo, exec_lo, s5
	s_and_saveexec_b32 s5, s4
	s_cbranch_execnz .LBB72_12
	s_branch .LBB72_13
.LBB72_53:                              ;   in Loop: Header=BB72_3 Depth=1
	global_load_b32 v4, v[14:15], off
	s_or_b32 exec_lo, exec_lo, s5
	s_and_saveexec_b32 s5, s2
	s_cbranch_execz .LBB72_15
.LBB72_54:                              ;   in Loop: Header=BB72_3 Depth=1
	global_load_b32 v5, v[14:15], off offset:128
	s_or_b32 exec_lo, exec_lo, s5
	s_and_saveexec_b32 s5, s3
	s_cbranch_execz .LBB72_16
.LBB72_55:                              ;   in Loop: Header=BB72_3 Depth=1
	global_load_b32 v6, v[14:15], off offset:256
	s_or_b32 exec_lo, exec_lo, s5
	s_and_saveexec_b32 s5, s4
	s_cbranch_execnz .LBB72_17
	s_branch .LBB72_18
.LBB72_56:                              ;   in Loop: Header=BB72_3 Depth=1
	global_load_u16 v57, v[4:5], off
	s_or_b32 exec_lo, exec_lo, s5
	s_and_saveexec_b32 s5, s2
	s_cbranch_execz .LBB72_20
.LBB72_57:                              ;   in Loop: Header=BB72_3 Depth=1
	global_load_u16 v56, v[4:5], off offset:64
	s_or_b32 exec_lo, exec_lo, s5
	s_and_saveexec_b32 s5, s3
	s_cbranch_execz .LBB72_21
.LBB72_58:                              ;   in Loop: Header=BB72_3 Depth=1
	global_load_u16 v55, v[4:5], off offset:128
	s_or_b32 exec_lo, exec_lo, s5
	s_and_saveexec_b32 s5, s4
	s_cbranch_execnz .LBB72_22
	s_branch .LBB72_23
.LBB72_59:                              ;   in Loop: Header=BB72_3 Depth=1
	global_load_b32 v0, v[16:17], off
	s_or_b32 exec_lo, exec_lo, s5
	s_and_saveexec_b32 s5, s2
	s_cbranch_execz .LBB72_25
.LBB72_60:                              ;   in Loop: Header=BB72_3 Depth=1
	global_load_b32 v1, v[16:17], off offset:128
	s_or_b32 exec_lo, exec_lo, s5
	s_and_saveexec_b32 s5, s3
	s_cbranch_execz .LBB72_26
.LBB72_61:                              ;   in Loop: Header=BB72_3 Depth=1
	global_load_b32 v2, v[16:17], off offset:256
	s_or_b32 exec_lo, exec_lo, s5
	s_and_saveexec_b32 s5, s4
	s_cbranch_execnz .LBB72_27
	s_branch .LBB72_28
.LBB72_62:                              ;   in Loop: Header=BB72_3 Depth=1
	s_waitcnt lgkmcnt(3)
	global_store_b16 v[4:5], v57, off
	s_or_b32 exec_lo, exec_lo, s5
	s_and_saveexec_b32 s5, s2
	s_cbranch_execz .LBB72_30
.LBB72_63:                              ;   in Loop: Header=BB72_3 Depth=1
	s_waitcnt lgkmcnt(2)
	global_store_b16 v[4:5], v56, off offset:64
	s_or_b32 exec_lo, exec_lo, s5
	s_and_saveexec_b32 s5, s3
	s_cbranch_execz .LBB72_31
.LBB72_64:                              ;   in Loop: Header=BB72_3 Depth=1
	s_waitcnt lgkmcnt(1)
	global_store_b16 v[4:5], v55, off offset:128
	s_or_b32 exec_lo, exec_lo, s5
	s_and_saveexec_b32 s5, s4
	s_cbranch_execnz .LBB72_32
	s_branch .LBB72_33
.LBB72_65:                              ;   in Loop: Header=BB72_3 Depth=1
	s_waitcnt lgkmcnt(3)
	global_store_b32 v[12:13], v8, off
	s_or_b32 exec_lo, exec_lo, s5
	s_and_saveexec_b32 s5, s2
	s_cbranch_execz .LBB72_35
.LBB72_66:                              ;   in Loop: Header=BB72_3 Depth=1
	s_waitcnt lgkmcnt(2)
	global_store_b32 v[12:13], v9, off offset:128
	s_or_b32 exec_lo, exec_lo, s5
	s_and_saveexec_b32 s5, s3
	s_cbranch_execz .LBB72_36
.LBB72_67:                              ;   in Loop: Header=BB72_3 Depth=1
	s_waitcnt lgkmcnt(1)
	global_store_b32 v[12:13], v10, off offset:256
	s_or_b32 exec_lo, exec_lo, s5
	s_and_saveexec_b32 s5, s4
	s_cbranch_execnz .LBB72_37
	s_branch .LBB72_38
.LBB72_68:                              ;   in Loop: Header=BB72_3 Depth=1
	s_waitcnt lgkmcnt(3)
	global_store_b32 v[14:15], v4, off
	s_or_b32 exec_lo, exec_lo, s5
	s_and_saveexec_b32 s5, s2
	s_cbranch_execz .LBB72_40
.LBB72_69:                              ;   in Loop: Header=BB72_3 Depth=1
	s_waitcnt lgkmcnt(2)
	global_store_b32 v[14:15], v5, off offset:128
	s_or_b32 exec_lo, exec_lo, s5
	s_and_saveexec_b32 s5, s3
	s_cbranch_execz .LBB72_41
.LBB72_70:                              ;   in Loop: Header=BB72_3 Depth=1
	s_waitcnt lgkmcnt(1)
	global_store_b32 v[14:15], v6, off offset:256
	s_or_b32 exec_lo, exec_lo, s5
	s_and_saveexec_b32 s5, s4
	s_cbranch_execnz .LBB72_42
	s_branch .LBB72_43
.LBB72_71:                              ;   in Loop: Header=BB72_3 Depth=1
	s_waitcnt lgkmcnt(3)
	global_store_b32 v[16:17], v0, off
	s_or_b32 exec_lo, exec_lo, s5
	s_and_saveexec_b32 s1, s2
	s_cbranch_execz .LBB72_45
.LBB72_72:                              ;   in Loop: Header=BB72_3 Depth=1
	s_waitcnt lgkmcnt(2)
	global_store_b32 v[16:17], v1, off offset:128
	s_or_b32 exec_lo, exec_lo, s1
	s_and_saveexec_b32 s1, s3
	s_cbranch_execz .LBB72_46
.LBB72_73:                              ;   in Loop: Header=BB72_3 Depth=1
	s_waitcnt lgkmcnt(1)
	global_store_b32 v[16:17], v2, off offset:256
	s_or_b32 exec_lo, exec_lo, s1
	s_and_saveexec_b32 s1, s4
	s_cbranch_execz .LBB72_2
.LBB72_74:                              ;   in Loop: Header=BB72_3 Depth=1
	s_waitcnt lgkmcnt(0)
	global_store_b32 v[16:17], v3, off offset:384
	s_branch .LBB72_2
.LBB72_75:
	s_nop 0
	s_sendmsg sendmsg(MSG_DEALLOC_VGPRS)
	s_endpgm
	.section	.rodata,"a",@progbits
	.p2align	6, 0x0
	.amdhsa_kernel _Z21kOptimizer32bit2StateI6__halfLi6EEvPT_S2_PfS3_S3_ffffffffiffbi
		.amdhsa_group_segment_fixed_size 16896
		.amdhsa_private_segment_fixed_size 0
		.amdhsa_kernarg_size 352
		.amdhsa_user_sgpr_count 15
		.amdhsa_user_sgpr_dispatch_ptr 0
		.amdhsa_user_sgpr_queue_ptr 0
		.amdhsa_user_sgpr_kernarg_segment_ptr 1
		.amdhsa_user_sgpr_dispatch_id 0
		.amdhsa_user_sgpr_private_segment_size 0
		.amdhsa_wavefront_size32 1
		.amdhsa_uses_dynamic_stack 0
		.amdhsa_enable_private_segment 0
		.amdhsa_system_sgpr_workgroup_id_x 1
		.amdhsa_system_sgpr_workgroup_id_y 0
		.amdhsa_system_sgpr_workgroup_id_z 0
		.amdhsa_system_sgpr_workgroup_info 0
		.amdhsa_system_vgpr_workitem_id 0
		.amdhsa_next_free_vgpr 84
		.amdhsa_next_free_sgpr 30
		.amdhsa_reserve_vcc 1
		.amdhsa_float_round_mode_32 0
		.amdhsa_float_round_mode_16_64 0
		.amdhsa_float_denorm_mode_32 3
		.amdhsa_float_denorm_mode_16_64 3
		.amdhsa_dx10_clamp 1
		.amdhsa_ieee_mode 1
		.amdhsa_fp16_overflow 0
		.amdhsa_workgroup_processor_mode 1
		.amdhsa_memory_ordered 1
		.amdhsa_forward_progress 0
		.amdhsa_shared_vgpr_count 0
		.amdhsa_exception_fp_ieee_invalid_op 0
		.amdhsa_exception_fp_denorm_src 0
		.amdhsa_exception_fp_ieee_div_zero 0
		.amdhsa_exception_fp_ieee_overflow 0
		.amdhsa_exception_fp_ieee_underflow 0
		.amdhsa_exception_fp_ieee_inexact 0
		.amdhsa_exception_int_div_zero 0
	.end_amdhsa_kernel
	.section	.text._Z21kOptimizer32bit2StateI6__halfLi6EEvPT_S2_PfS3_S3_ffffffffiffbi,"axG",@progbits,_Z21kOptimizer32bit2StateI6__halfLi6EEvPT_S2_PfS3_S3_ffffffffiffbi,comdat
.Lfunc_end72:
	.size	_Z21kOptimizer32bit2StateI6__halfLi6EEvPT_S2_PfS3_S3_ffffffffiffbi, .Lfunc_end72-_Z21kOptimizer32bit2StateI6__halfLi6EEvPT_S2_PfS3_S3_ffffffffiffbi
                                        ; -- End function
	.section	.AMDGPU.csdata,"",@progbits
; Kernel info:
; codeLenInByte = 6712
; NumSgprs: 32
; NumVgprs: 84
; ScratchSize: 0
; MemoryBound: 0
; FloatMode: 240
; IeeeMode: 1
; LDSByteSize: 16896 bytes/workgroup (compile time only)
; SGPRBlocks: 3
; VGPRBlocks: 10
; NumSGPRsForWavesPerEU: 32
; NumVGPRsForWavesPerEU: 84
; Occupancy: 16
; WaveLimiterHint : 0
; COMPUTE_PGM_RSRC2:SCRATCH_EN: 0
; COMPUTE_PGM_RSRC2:USER_SGPR: 15
; COMPUTE_PGM_RSRC2:TRAP_HANDLER: 0
; COMPUTE_PGM_RSRC2:TGID_X_EN: 1
; COMPUTE_PGM_RSRC2:TGID_Y_EN: 0
; COMPUTE_PGM_RSRC2:TGID_Z_EN: 0
; COMPUTE_PGM_RSRC2:TIDIG_COMP_CNT: 0
	.section	.text._Z21kOptimizer32bit2StateI12hip_bfloat16Li6EEvPT_S2_PfS3_S3_ffffffffiffbi,"axG",@progbits,_Z21kOptimizer32bit2StateI12hip_bfloat16Li6EEvPT_S2_PfS3_S3_ffffffffiffbi,comdat
